;; amdgpu-corpus repo=ROCm/rocFFT kind=compiled arch=gfx950 opt=O3
	.text
	.amdgcn_target "amdgcn-amd-amdhsa--gfx950"
	.amdhsa_code_object_version 6
	.protected	fft_rtc_back_len672_factors_2_2_2_2_2_3_7_wgs_56_tpt_56_halfLds_dp_ip_CI_unitstride_sbrr_dirReg ; -- Begin function fft_rtc_back_len672_factors_2_2_2_2_2_3_7_wgs_56_tpt_56_halfLds_dp_ip_CI_unitstride_sbrr_dirReg
	.globl	fft_rtc_back_len672_factors_2_2_2_2_2_3_7_wgs_56_tpt_56_halfLds_dp_ip_CI_unitstride_sbrr_dirReg
	.p2align	8
	.type	fft_rtc_back_len672_factors_2_2_2_2_2_3_7_wgs_56_tpt_56_halfLds_dp_ip_CI_unitstride_sbrr_dirReg,@function
fft_rtc_back_len672_factors_2_2_2_2_2_3_7_wgs_56_tpt_56_halfLds_dp_ip_CI_unitstride_sbrr_dirReg: ; @fft_rtc_back_len672_factors_2_2_2_2_2_3_7_wgs_56_tpt_56_halfLds_dp_ip_CI_unitstride_sbrr_dirReg
; %bb.0:
	s_load_dwordx2 s[8:9], s[0:1], 0x50
	s_load_dwordx4 s[4:7], s[0:1], 0x0
	s_load_dwordx2 s[10:11], s[0:1], 0x18
	v_mul_u32_u24_e32 v1, 0x493, v0
	v_add_u32_sdwa v6, s2, v1 dst_sel:DWORD dst_unused:UNUSED_PAD src0_sel:DWORD src1_sel:WORD_1
	v_mov_b32_e32 v4, 0
	s_waitcnt lgkmcnt(0)
	v_cmp_lt_u64_e64 s[2:3], s[6:7], 2
	v_mov_b32_e32 v7, v4
	s_and_b64 vcc, exec, s[2:3]
	v_mov_b64_e32 v[2:3], 0
	s_cbranch_vccnz .LBB0_8
; %bb.1:
	s_load_dwordx2 s[2:3], s[0:1], 0x10
	s_add_u32 s12, s10, 8
	s_addc_u32 s13, s11, 0
	s_mov_b64 s[14:15], 1
	v_mov_b64_e32 v[2:3], 0
	s_waitcnt lgkmcnt(0)
	s_add_u32 s16, s2, 8
	s_addc_u32 s17, s3, 0
.LBB0_2:                                ; =>This Inner Loop Header: Depth=1
	s_load_dwordx2 s[18:19], s[16:17], 0x0
                                        ; implicit-def: $vgpr8_vgpr9
	s_waitcnt lgkmcnt(0)
	v_or_b32_e32 v5, s19, v7
	v_cmp_ne_u64_e32 vcc, 0, v[4:5]
	s_and_saveexec_b64 s[2:3], vcc
	s_xor_b64 s[20:21], exec, s[2:3]
	s_cbranch_execz .LBB0_4
; %bb.3:                                ;   in Loop: Header=BB0_2 Depth=1
	v_cvt_f32_u32_e32 v1, s18
	v_cvt_f32_u32_e32 v5, s19
	s_sub_u32 s2, 0, s18
	s_subb_u32 s3, 0, s19
	v_fmac_f32_e32 v1, 0x4f800000, v5
	v_rcp_f32_e32 v1, v1
	s_nop 0
	v_mul_f32_e32 v1, 0x5f7ffffc, v1
	v_mul_f32_e32 v5, 0x2f800000, v1
	v_trunc_f32_e32 v5, v5
	v_fmac_f32_e32 v1, 0xcf800000, v5
	v_cvt_u32_f32_e32 v5, v5
	v_cvt_u32_f32_e32 v1, v1
	v_mul_lo_u32 v8, s2, v5
	v_mul_hi_u32 v10, s2, v1
	v_mul_lo_u32 v9, s3, v1
	v_add_u32_e32 v10, v10, v8
	v_mul_lo_u32 v12, s2, v1
	v_add_u32_e32 v13, v10, v9
	v_mul_hi_u32 v8, v1, v12
	v_mul_hi_u32 v11, v1, v13
	v_mul_lo_u32 v10, v1, v13
	v_mov_b32_e32 v9, v4
	v_lshl_add_u64 v[8:9], v[8:9], 0, v[10:11]
	v_mul_hi_u32 v11, v5, v12
	v_mul_lo_u32 v12, v5, v12
	v_add_co_u32_e32 v8, vcc, v8, v12
	v_mul_hi_u32 v10, v5, v13
	s_nop 0
	v_addc_co_u32_e32 v8, vcc, v9, v11, vcc
	v_mov_b32_e32 v9, v4
	s_nop 0
	v_addc_co_u32_e32 v11, vcc, 0, v10, vcc
	v_mul_lo_u32 v10, v5, v13
	v_lshl_add_u64 v[8:9], v[8:9], 0, v[10:11]
	v_add_co_u32_e32 v1, vcc, v1, v8
	v_mul_lo_u32 v10, s2, v1
	s_nop 0
	v_addc_co_u32_e32 v5, vcc, v5, v9, vcc
	v_mul_lo_u32 v8, s2, v5
	v_mul_hi_u32 v9, s2, v1
	v_add_u32_e32 v8, v9, v8
	v_mul_lo_u32 v9, s3, v1
	v_add_u32_e32 v12, v8, v9
	v_mul_hi_u32 v14, v5, v10
	v_mul_lo_u32 v15, v5, v10
	v_mul_hi_u32 v9, v1, v12
	v_mul_lo_u32 v8, v1, v12
	v_mul_hi_u32 v10, v1, v10
	v_mov_b32_e32 v11, v4
	v_lshl_add_u64 v[8:9], v[10:11], 0, v[8:9]
	v_add_co_u32_e32 v8, vcc, v8, v15
	v_mul_hi_u32 v13, v5, v12
	s_nop 0
	v_addc_co_u32_e32 v8, vcc, v9, v14, vcc
	v_mul_lo_u32 v10, v5, v12
	s_nop 0
	v_addc_co_u32_e32 v11, vcc, 0, v13, vcc
	v_mov_b32_e32 v9, v4
	v_lshl_add_u64 v[8:9], v[8:9], 0, v[10:11]
	v_add_co_u32_e32 v1, vcc, v1, v8
	v_mul_hi_u32 v10, v6, v1
	s_nop 0
	v_addc_co_u32_e32 v5, vcc, v5, v9, vcc
	v_mad_u64_u32 v[8:9], s[2:3], v6, v5, 0
	v_mov_b32_e32 v11, v4
	v_lshl_add_u64 v[8:9], v[10:11], 0, v[8:9]
	v_mad_u64_u32 v[12:13], s[2:3], v7, v1, 0
	v_add_co_u32_e32 v1, vcc, v8, v12
	v_mad_u64_u32 v[10:11], s[2:3], v7, v5, 0
	s_nop 0
	v_addc_co_u32_e32 v8, vcc, v9, v13, vcc
	v_mov_b32_e32 v9, v4
	s_nop 0
	v_addc_co_u32_e32 v11, vcc, 0, v11, vcc
	v_lshl_add_u64 v[8:9], v[8:9], 0, v[10:11]
	v_mul_lo_u32 v1, s19, v8
	v_mul_lo_u32 v5, s18, v9
	v_mad_u64_u32 v[10:11], s[2:3], s18, v8, 0
	v_add3_u32 v1, v11, v5, v1
	v_sub_u32_e32 v5, v7, v1
	v_mov_b32_e32 v11, s19
	v_sub_co_u32_e32 v14, vcc, v6, v10
	v_lshl_add_u64 v[12:13], v[8:9], 0, 1
	s_nop 0
	v_subb_co_u32_e64 v5, s[2:3], v5, v11, vcc
	v_subrev_co_u32_e64 v10, s[2:3], s18, v14
	v_subb_co_u32_e32 v1, vcc, v7, v1, vcc
	s_nop 0
	v_subbrev_co_u32_e64 v5, s[2:3], 0, v5, s[2:3]
	v_cmp_le_u32_e64 s[2:3], s19, v5
	v_cmp_le_u32_e32 vcc, s19, v1
	s_nop 0
	v_cndmask_b32_e64 v11, 0, -1, s[2:3]
	v_cmp_le_u32_e64 s[2:3], s18, v10
	s_nop 1
	v_cndmask_b32_e64 v10, 0, -1, s[2:3]
	v_cmp_eq_u32_e64 s[2:3], s19, v5
	s_nop 1
	v_cndmask_b32_e64 v5, v11, v10, s[2:3]
	v_lshl_add_u64 v[10:11], v[8:9], 0, 2
	v_cmp_ne_u32_e64 s[2:3], 0, v5
	s_nop 1
	v_cndmask_b32_e64 v5, v13, v11, s[2:3]
	v_cndmask_b32_e64 v11, 0, -1, vcc
	v_cmp_le_u32_e32 vcc, s18, v14
	s_nop 1
	v_cndmask_b32_e64 v13, 0, -1, vcc
	v_cmp_eq_u32_e32 vcc, s19, v1
	s_nop 1
	v_cndmask_b32_e32 v1, v11, v13, vcc
	v_cmp_ne_u32_e32 vcc, 0, v1
	v_cndmask_b32_e64 v1, v12, v10, s[2:3]
	s_nop 0
	v_cndmask_b32_e32 v9, v9, v5, vcc
	v_cndmask_b32_e32 v8, v8, v1, vcc
.LBB0_4:                                ;   in Loop: Header=BB0_2 Depth=1
	s_andn2_saveexec_b64 s[2:3], s[20:21]
	s_cbranch_execz .LBB0_6
; %bb.5:                                ;   in Loop: Header=BB0_2 Depth=1
	v_cvt_f32_u32_e32 v1, s18
	s_sub_i32 s20, 0, s18
	v_rcp_iflag_f32_e32 v1, v1
	s_nop 0
	v_mul_f32_e32 v1, 0x4f7ffffe, v1
	v_cvt_u32_f32_e32 v1, v1
	v_mul_lo_u32 v5, s20, v1
	v_mul_hi_u32 v5, v1, v5
	v_add_u32_e32 v1, v1, v5
	v_mul_hi_u32 v1, v6, v1
	v_mul_lo_u32 v5, v1, s18
	v_sub_u32_e32 v5, v6, v5
	v_add_u32_e32 v8, 1, v1
	v_subrev_u32_e32 v9, s18, v5
	v_cmp_le_u32_e32 vcc, s18, v5
	s_nop 1
	v_cndmask_b32_e32 v5, v5, v9, vcc
	v_cndmask_b32_e32 v1, v1, v8, vcc
	v_add_u32_e32 v8, 1, v1
	v_cmp_le_u32_e32 vcc, s18, v5
	v_mov_b32_e32 v9, v4
	s_nop 0
	v_cndmask_b32_e32 v8, v1, v8, vcc
.LBB0_6:                                ;   in Loop: Header=BB0_2 Depth=1
	s_or_b64 exec, exec, s[2:3]
	v_mad_u64_u32 v[10:11], s[2:3], v8, s18, 0
	s_load_dwordx2 s[2:3], s[12:13], 0x0
	v_mul_lo_u32 v1, v9, s18
	v_mul_lo_u32 v5, v8, s19
	v_add3_u32 v1, v11, v5, v1
	v_sub_co_u32_e32 v5, vcc, v6, v10
	s_add_u32 s14, s14, 1
	s_nop 0
	v_subb_co_u32_e32 v1, vcc, v7, v1, vcc
	s_addc_u32 s15, s15, 0
	s_waitcnt lgkmcnt(0)
	v_mul_lo_u32 v1, s2, v1
	v_mul_lo_u32 v6, s3, v5
	v_mad_u64_u32 v[2:3], s[2:3], s2, v5, v[2:3]
	s_add_u32 s12, s12, 8
	v_add3_u32 v3, v6, v3, v1
	s_addc_u32 s13, s13, 0
	v_mov_b64_e32 v[6:7], s[6:7]
	s_add_u32 s16, s16, 8
	v_cmp_ge_u64_e32 vcc, s[14:15], v[6:7]
	s_addc_u32 s17, s17, 0
	s_cbranch_vccnz .LBB0_9
; %bb.7:                                ;   in Loop: Header=BB0_2 Depth=1
	v_mov_b64_e32 v[6:7], v[8:9]
	s_branch .LBB0_2
.LBB0_8:
	v_mov_b64_e32 v[8:9], v[6:7]
.LBB0_9:
	s_lshl_b64 s[2:3], s[6:7], 3
	s_add_u32 s2, s10, s2
	s_addc_u32 s3, s11, s3
	s_load_dwordx2 s[6:7], s[2:3], 0x0
	s_load_dwordx2 s[10:11], s[0:1], 0x20
	s_mov_b32 s2, 0x4924925
                                        ; implicit-def: $vgpr38_vgpr39
                                        ; implicit-def: $vgpr30_vgpr31
                                        ; implicit-def: $vgpr34_vgpr35
                                        ; implicit-def: $vgpr26_vgpr27
                                        ; implicit-def: $vgpr22_vgpr23
                                        ; implicit-def: $vgpr14_vgpr15
                                        ; implicit-def: $vgpr18_vgpr19
                                        ; implicit-def: $vgpr10_vgpr11
                                        ; implicit-def: $vgpr6_vgpr7
                                        ; implicit-def: $vgpr46_vgpr47
                                        ; implicit-def: $vgpr42_vgpr43
	s_waitcnt lgkmcnt(0)
	v_mul_lo_u32 v1, s6, v9
	v_mul_lo_u32 v4, s7, v8
	v_mad_u64_u32 v[2:3], s[0:1], s6, v8, v[2:3]
	v_add3_u32 v3, v4, v3, v1
	v_mul_hi_u32 v1, v0, s2
	v_mul_u32_u24_e32 v1, 56, v1
	v_cmp_gt_u64_e64 s[0:1], s[10:11], v[8:9]
	v_sub_u32_e32 v56, v0, v1
	v_lshl_add_u64 v[58:59], v[2:3], 4, s[8:9]
                                        ; implicit-def: $vgpr2_vgpr3
	s_and_saveexec_b64 s[2:3], s[0:1]
	s_cbranch_execz .LBB0_11
; %bb.10:
	v_mov_b32_e32 v57, 0
	v_lshl_add_u64 v[48:49], v[56:57], 4, v[58:59]
	v_add_co_u32_e32 v50, vcc, 0x1000, v48
	v_or_b32_e32 v8, 0x1c0, v56
	s_nop 0
	v_addc_co_u32_e32 v51, vcc, 0, v49, vcc
	v_mov_b32_e32 v9, v57
	s_movk_i32 s6, 0x2000
	v_lshl_add_u64 v[24:25], v[8:9], 4, v[58:59]
	v_add_co_u32_e32 v52, vcc, s6, v48
	global_load_dwordx4 v[40:43], v[48:49], off
	global_load_dwordx4 v[0:3], v[48:49], off offset:896
	global_load_dwordx4 v[44:47], v[50:51], off offset:1280
	;; [unrolled: 1-line block ×5, first 2 shown]
	global_load_dwordx4 v[16:19], v[24:25], off
	global_load_dwordx4 v[20:23], v[50:51], off offset:3968
	v_addc_co_u32_e32 v53, vcc, 0, v49, vcc
	global_load_dwordx4 v[24:27], v[48:49], off offset:3584
	global_load_dwordx4 v[28:31], v[50:51], off offset:384
	;; [unrolled: 1-line block ×4, first 2 shown]
.LBB0_11:
	s_or_b64 exec, exec, s[2:3]
	s_waitcnt vmcnt(9)
	v_add_f64 v[48:49], v[40:41], -v[44:45]
	s_waitcnt vmcnt(8)
	v_add_f64 v[52:53], v[0:1], -v[4:5]
	v_add_f64 v[44:45], v[42:43], -v[46:47]
	v_fma_f64 v[46:47], v[40:41], 2.0, -v[48:49]
	v_fma_f64 v[50:51], v[0:1], 2.0, -v[52:53]
	v_lshl_add_u32 v1, v56, 4, 0
	s_waitcnt vmcnt(5)
	v_add_f64 v[62:63], v[8:9], -v[16:17]
	ds_write_b128 v1, v[46:49]
	s_waitcnt vmcnt(4)
	v_add_f64 v[48:49], v[12:13], -v[20:21]
	v_add_u32_e32 v17, 0xa8, v56
	v_fma_f64 v[46:47], v[12:13], 2.0, -v[48:49]
	v_lshl_add_u32 v41, v17, 4, 0
	ds_write_b128 v41, v[46:49]
	s_waitcnt vmcnt(1)
	v_add_f64 v[48:49], v[24:25], -v[32:33]
	v_add_u32_e32 v72, 0xe0, v56
	v_fma_f64 v[46:47], v[24:25], 2.0, -v[48:49]
	v_lshl_add_u32 v32, v72, 4, 0
	v_lshlrev_b32_e32 v4, 3, v56
	v_add_u32_e32 v74, 56, v56
	v_add_u32_e32 v16, 0x70, v56
	ds_write_b128 v32, v[46:49]
	s_waitcnt vmcnt(0)
	v_add_f64 v[48:49], v[28:29], -v[36:37]
	v_add_u32_e32 v0, 0x118, v56
	v_sub_u32_e32 v57, v1, v4
	v_add_f64 v[4:5], v[2:3], -v[6:7]
	v_fma_f64 v[42:43], v[42:43], 2.0, -v[44:45]
	v_fma_f64 v[60:61], v[8:9], 2.0, -v[62:63]
	v_lshl_add_u32 v9, v74, 4, 0
	v_lshl_add_u32 v40, v16, 4, 0
	v_fma_f64 v[46:47], v[28:29], 2.0, -v[48:49]
	v_lshl_add_u32 v33, v0, 4, 0
	v_fma_f64 v[2:3], v[2:3], 2.0, -v[4:5]
	v_add_f64 v[12:13], v[10:11], -v[18:19]
	v_add_f64 v[20:21], v[14:15], -v[22:23]
	;; [unrolled: 1-line block ×4, first 2 shown]
	ds_write_b128 v9, v[50:53]
	ds_write_b128 v40, v[60:63]
	;; [unrolled: 1-line block ×3, first 2 shown]
	s_waitcnt lgkmcnt(0)
	; wave barrier
	s_waitcnt lgkmcnt(0)
	v_add_u32_e32 v75, 0x800, v57
	v_add_u32_e32 v76, 0x400, v57
	;; [unrolled: 1-line block ×3, first 2 shown]
	ds_read2_b64 v[46:49], v57 offset1:56
	ds_read2_b64 v[50:53], v75 offset0:80 offset1:136
	ds_read2_b64 v[60:63], v57 offset0:112 offset1:168
	;; [unrolled: 1-line block ×5, first 2 shown]
	s_waitcnt lgkmcnt(0)
	; wave barrier
	s_waitcnt lgkmcnt(0)
	ds_write_b128 v1, v[42:45]
	v_fma_f64 v[10:11], v[10:11], 2.0, -v[12:13]
	v_fma_f64 v[18:19], v[14:15], 2.0, -v[20:21]
	v_fma_f64 v[22:23], v[26:27], 2.0, -v[24:25]
	v_fma_f64 v[26:27], v[30:31], 2.0, -v[28:29]
	ds_write_b128 v9, v[2:5]
	ds_write_b128 v40, v[10:13]
	;; [unrolled: 1-line block ×5, first 2 shown]
	v_and_b32_e32 v9, 1, v56
	v_lshlrev_b32_e32 v1, 4, v9
	s_waitcnt lgkmcnt(0)
	; wave barrier
	s_waitcnt lgkmcnt(0)
	global_load_dwordx4 v[2:5], v1, s[4:5]
	ds_read2_b64 v[10:13], v75 offset0:80 offset1:136
	ds_read2_b64 v[18:21], v75 offset0:192 offset1:248
	;; [unrolled: 1-line block ×3, first 2 shown]
	s_movk_i32 s2, 0x7c
	v_and_b32_e32 v77, 31, v56
	v_and_b32_e32 v90, 31, v74
	;; [unrolled: 1-line block ×4, first 2 shown]
	s_mov_b32 s6, 0xe8584caa
	s_mov_b32 s7, 0xbfebb67a
	;; [unrolled: 1-line block ×4, first 2 shown]
	s_waitcnt vmcnt(0) lgkmcnt(2)
	v_mul_f64 v[6:7], v[10:11], v[4:5]
	v_mul_f64 v[26:27], v[12:13], v[4:5]
	;; [unrolled: 1-line block ×5, first 2 shown]
	s_waitcnt lgkmcnt(1)
	v_mul_f64 v[30:31], v[18:19], v[4:5]
	v_mul_f64 v[34:35], v[20:21], v[4:5]
	v_mul_f64 v[36:37], v[66:67], v[4:5]
	v_fmac_f64_e32 v[6:7], v[50:51], v[2:3]
	v_fmac_f64_e32 v[26:27], v[52:53], v[2:3]
	v_fma_f64 v[50:51], v[12:13], v[2:3], -v[28:29]
	v_fma_f64 v[52:53], v[18:19], v[2:3], -v[32:33]
	s_waitcnt lgkmcnt(0)
	v_mul_f64 v[28:29], v[22:23], v[4:5]
	v_mul_f64 v[18:19], v[78:79], v[4:5]
	;; [unrolled: 1-line block ×4, first 2 shown]
	v_fmac_f64_e32 v[34:35], v[66:67], v[2:3]
	v_fma_f64 v[66:67], v[24:25], v[2:3], -v[4:5]
	v_lshlrev_b32_e32 v5, 1, v56
	v_fma_f64 v[14:15], v[10:11], v[2:3], -v[14:15]
	v_fmac_f64_e32 v[30:31], v[64:65], v[2:3]
	v_fma_f64 v[54:55], v[20:21], v[2:3], -v[36:37]
	v_fmac_f64_e32 v[28:29], v[78:79], v[2:3]
	v_fmac_f64_e32 v[32:33], v[80:81], v[2:3]
	v_fma_f64 v[64:65], v[22:23], v[2:3], -v[18:19]
	v_add_f64 v[2:3], v[46:47], -v[6:7]
	v_and_or_b32 v1, v5, s2, v9
	v_lshl_add_u32 v73, v1, 3, 0
	v_fma_f64 v[6:7], v[46:47], 2.0, -v[2:3]
	ds_read2_b64 v[10:13], v57 offset1:56
	ds_read2_b64 v[18:21], v57 offset0:112 offset1:168
	ds_read2_b64 v[22:25], v76 offset0:96 offset1:152
	s_waitcnt lgkmcnt(0)
	; wave barrier
	s_waitcnt lgkmcnt(0)
	ds_write2_b64 v73, v[6:7], v[2:3] offset1:2
	v_lshlrev_b32_e32 v6, 1, v74
	s_movk_i32 s2, 0xfc
	v_add_f64 v[2:3], v[48:49], -v[26:27]
	v_and_or_b32 v1, v6, s2, v9
	v_fma_f64 v[26:27], v[48:49], 2.0, -v[2:3]
	v_lshl_add_u32 v7, v1, 3, 0
	ds_write2_b64 v7, v[26:27], v[2:3] offset1:2
	v_lshlrev_b32_e32 v3, 1, v16
	s_movk_i32 s2, 0x1fc
	v_add_f64 v[26:27], v[60:61], -v[30:31]
	v_and_or_b32 v42, v3, s2, v9
	v_lshlrev_b32_e32 v2, 1, v17
	v_fma_f64 v[30:31], v[60:61], 2.0, -v[26:27]
	v_lshl_add_u32 v60, v42, 3, 0
	v_lshlrev_b32_e32 v1, 1, v72
	ds_write2_b64 v60, v[30:31], v[26:27] offset1:2
	v_and_or_b32 v26, v2, s2, v9
	s_movk_i32 s2, 0x3fc
	v_lshlrev_b32_e32 v4, 1, v0
	v_lshl_add_u32 v61, v26, 3, 0
	v_and_or_b32 v26, v1, s2, v9
	s_movk_i32 s2, 0x2fc
	v_add_f64 v[34:35], v[62:63], -v[34:35]
	v_add_f64 v[28:29], v[68:69], -v[28:29]
	;; [unrolled: 1-line block ×4, first 2 shown]
	v_and_or_b32 v9, v4, s2, v9
	v_fma_f64 v[36:37], v[62:63], 2.0, -v[34:35]
	v_fma_f64 v[38:39], v[68:69], 2.0, -v[28:29]
	;; [unrolled: 1-line block ×3, first 2 shown]
	v_lshl_add_u32 v62, v26, 3, 0
	v_lshl_add_u32 v9, v9, 3, 0
	v_fma_f64 v[10:11], v[10:11], 2.0, -v[14:15]
	ds_write2_b64 v61, v[36:37], v[34:35] offset1:2
	ds_write2_b64 v62, v[38:39], v[28:29] offset1:2
	;; [unrolled: 1-line block ×3, first 2 shown]
	s_waitcnt lgkmcnt(0)
	; wave barrier
	s_waitcnt lgkmcnt(0)
	ds_read2_b64 v[26:29], v57 offset1:56
	ds_read2_b64 v[30:33], v75 offset0:80 offset1:136
	ds_read2_b64 v[34:37], v57 offset0:112 offset1:168
	;; [unrolled: 1-line block ×5, first 2 shown]
	s_waitcnt lgkmcnt(0)
	; wave barrier
	s_waitcnt lgkmcnt(0)
	ds_write2_b64 v73, v[10:11], v[14:15] offset1:2
	v_add_f64 v[10:11], v[12:13], -v[50:51]
	v_fma_f64 v[12:13], v[12:13], 2.0, -v[10:11]
	ds_write2_b64 v7, v[12:13], v[10:11] offset1:2
	v_add_f64 v[10:11], v[18:19], -v[52:53]
	v_add_f64 v[12:13], v[20:21], -v[54:55]
	v_fma_f64 v[14:15], v[18:19], 2.0, -v[10:11]
	v_fma_f64 v[18:19], v[20:21], 2.0, -v[12:13]
	v_add_f64 v[20:21], v[22:23], -v[64:65]
	v_add_f64 v[50:51], v[24:25], -v[66:67]
	v_and_b32_e32 v7, 3, v56
	v_fma_f64 v[22:23], v[22:23], 2.0, -v[20:21]
	v_fma_f64 v[24:25], v[24:25], 2.0, -v[50:51]
	ds_write2_b64 v60, v[14:15], v[10:11] offset1:2
	ds_write2_b64 v61, v[18:19], v[12:13] offset1:2
	;; [unrolled: 1-line block ×4, first 2 shown]
	v_lshlrev_b32_e32 v9, 4, v7
	s_waitcnt lgkmcnt(0)
	; wave barrier
	s_waitcnt lgkmcnt(0)
	global_load_dwordx4 v[10:13], v9, s[4:5] offset:32
	ds_read2_b64 v[18:21], v75 offset0:80 offset1:136
	ds_read2_b64 v[22:25], v75 offset0:192 offset1:248
	s_movk_i32 s2, 0x78
	v_and_or_b32 v9, v5, s2, v7
	v_lshl_add_u32 v9, v9, 3, 0
	s_movk_i32 s2, 0xf8
	v_and_b32_e32 v0, 15, v0
	v_lshrrev_b32_e32 v16, 5, v16
	v_mul_u32_u24_e32 v16, 0x60, v16
	v_or_b32_e32 v16, v16, v91
	s_waitcnt vmcnt(0) lgkmcnt(1)
	v_mul_f64 v[14:15], v[18:19], v[12:13]
	v_fmac_f64_e32 v[14:15], v[30:31], v[10:11]
	v_mul_f64 v[30:31], v[30:31], v[12:13]
	v_fma_f64 v[30:31], v[18:19], v[10:11], -v[30:31]
	v_mul_f64 v[18:19], v[32:33], v[12:13]
	v_fma_f64 v[52:53], v[20:21], v[10:11], -v[18:19]
	v_mul_f64 v[18:19], v[38:39], v[12:13]
	v_mul_f64 v[50:51], v[20:21], v[12:13]
	s_waitcnt lgkmcnt(0)
	v_fma_f64 v[54:55], v[22:23], v[10:11], -v[18:19]
	ds_read2_b64 v[18:21], v8 offset0:48 offset1:104
	v_fmac_f64_e32 v[50:51], v[32:33], v[10:11]
	v_mul_f64 v[32:33], v[22:23], v[12:13]
	v_fmac_f64_e32 v[32:33], v[38:39], v[10:11]
	v_mul_f64 v[38:39], v[24:25], v[12:13]
	v_mul_f64 v[22:23], v[40:41], v[12:13]
	v_fmac_f64_e32 v[38:39], v[40:41], v[10:11]
	v_fma_f64 v[60:61], v[24:25], v[10:11], -v[22:23]
	s_waitcnt lgkmcnt(0)
	v_mul_f64 v[40:41], v[18:19], v[12:13]
	v_mul_f64 v[62:63], v[20:21], v[12:13]
	;; [unrolled: 1-line block ×4, first 2 shown]
	v_fmac_f64_e32 v[40:41], v[46:47], v[10:11]
	v_fmac_f64_e32 v[62:63], v[48:49], v[10:11]
	v_fma_f64 v[64:65], v[18:19], v[10:11], -v[22:23]
	v_fma_f64 v[66:67], v[20:21], v[10:11], -v[12:13]
	ds_read2_b64 v[10:13], v57 offset1:56
	v_add_f64 v[14:15], v[26:27], -v[14:15]
	v_fma_f64 v[26:27], v[26:27], 2.0, -v[14:15]
	ds_read2_b64 v[18:21], v57 offset0:112 offset1:168
	ds_read2_b64 v[22:25], v76 offset0:96 offset1:152
	s_waitcnt lgkmcnt(0)
	; wave barrier
	s_waitcnt lgkmcnt(0)
	ds_write2_b64 v9, v[26:27], v[14:15] offset1:4
	v_add_f64 v[14:15], v[28:29], -v[50:51]
	v_fma_f64 v[26:27], v[28:29], 2.0, -v[14:15]
	v_and_or_b32 v28, v6, s2, v7
	v_lshl_add_u32 v68, v28, 3, 0
	s_movk_i32 s2, 0x1f8
	ds_write2_b64 v68, v[26:27], v[14:15] offset1:4
	v_add_f64 v[14:15], v[34:35], -v[32:33]
	v_add_f64 v[26:27], v[36:37], -v[38:39]
	;; [unrolled: 1-line block ×3, first 2 shown]
	v_and_or_b32 v30, v3, s2, v7
	v_fma_f64 v[28:29], v[34:35], 2.0, -v[14:15]
	v_fma_f64 v[32:33], v[36:37], 2.0, -v[26:27]
	v_add_f64 v[36:37], v[44:45], -v[62:63]
	v_lshl_add_u32 v62, v30, 3, 0
	ds_write2_b64 v62, v[28:29], v[14:15] offset1:4
	v_and_or_b32 v14, v2, s2, v7
	s_movk_i32 s2, 0x3f8
	v_lshl_add_u32 v63, v14, 3, 0
	v_and_or_b32 v14, v1, s2, v7
	s_movk_i32 s2, 0x2f8
	v_add_f64 v[34:35], v[42:43], -v[40:41]
	v_and_or_b32 v7, v4, s2, v7
	v_fma_f64 v[38:39], v[42:43], 2.0, -v[34:35]
	v_fma_f64 v[40:41], v[44:45], 2.0, -v[36:37]
	v_lshl_add_u32 v69, v14, 3, 0
	v_lshl_add_u32 v7, v7, 3, 0
	v_fma_f64 v[10:11], v[10:11], 2.0, -v[50:51]
	ds_write2_b64 v63, v[32:33], v[26:27] offset1:4
	ds_write2_b64 v69, v[38:39], v[34:35] offset1:4
	;; [unrolled: 1-line block ×3, first 2 shown]
	s_waitcnt lgkmcnt(0)
	; wave barrier
	s_waitcnt lgkmcnt(0)
	ds_read2_b64 v[26:29], v57 offset1:56
	ds_read2_b64 v[30:33], v75 offset0:80 offset1:136
	ds_read2_b64 v[34:37], v57 offset0:112 offset1:168
	;; [unrolled: 1-line block ×5, first 2 shown]
	s_waitcnt lgkmcnt(0)
	; wave barrier
	s_waitcnt lgkmcnt(0)
	ds_write2_b64 v9, v[10:11], v[50:51] offset1:4
	v_add_f64 v[10:11], v[12:13], -v[52:53]
	v_fma_f64 v[12:13], v[12:13], 2.0, -v[10:11]
	ds_write2_b64 v68, v[12:13], v[10:11] offset1:4
	v_add_f64 v[10:11], v[18:19], -v[54:55]
	v_add_f64 v[12:13], v[20:21], -v[60:61]
	v_fma_f64 v[14:15], v[18:19], 2.0, -v[10:11]
	v_fma_f64 v[18:19], v[20:21], 2.0, -v[12:13]
	v_add_f64 v[20:21], v[22:23], -v[64:65]
	v_add_f64 v[50:51], v[24:25], -v[66:67]
	v_fma_f64 v[22:23], v[22:23], 2.0, -v[20:21]
	v_fma_f64 v[24:25], v[24:25], 2.0, -v[50:51]
	ds_write2_b64 v62, v[14:15], v[10:11] offset1:4
	ds_write2_b64 v63, v[18:19], v[12:13] offset1:4
	;; [unrolled: 1-line block ×4, first 2 shown]
	v_and_b32_e32 v7, 7, v56
	v_lshlrev_b32_e32 v9, 4, v7
	s_waitcnt lgkmcnt(0)
	; wave barrier
	s_waitcnt lgkmcnt(0)
	global_load_dwordx4 v[10:13], v9, s[4:5] offset:96
	ds_read2_b64 v[18:21], v75 offset0:80 offset1:136
	ds_read2_b64 v[22:25], v75 offset0:192 offset1:248
	s_movk_i32 s2, 0x70
	v_and_or_b32 v9, v5, s2, v7
	v_lshl_add_u32 v9, v9, 3, 0
	s_movk_i32 s2, 0xf0
	s_waitcnt vmcnt(0) lgkmcnt(1)
	v_mul_f64 v[14:15], v[18:19], v[12:13]
	v_fmac_f64_e32 v[14:15], v[30:31], v[10:11]
	v_mul_f64 v[30:31], v[30:31], v[12:13]
	v_fma_f64 v[30:31], v[18:19], v[10:11], -v[30:31]
	v_mul_f64 v[18:19], v[32:33], v[12:13]
	v_fma_f64 v[52:53], v[20:21], v[10:11], -v[18:19]
	v_mul_f64 v[18:19], v[38:39], v[12:13]
	v_mul_f64 v[50:51], v[20:21], v[12:13]
	s_waitcnt lgkmcnt(0)
	v_fma_f64 v[54:55], v[22:23], v[10:11], -v[18:19]
	ds_read2_b64 v[18:21], v8 offset0:48 offset1:104
	v_fmac_f64_e32 v[50:51], v[32:33], v[10:11]
	v_mul_f64 v[32:33], v[22:23], v[12:13]
	v_fmac_f64_e32 v[32:33], v[38:39], v[10:11]
	v_mul_f64 v[38:39], v[24:25], v[12:13]
	v_mul_f64 v[22:23], v[40:41], v[12:13]
	v_fmac_f64_e32 v[38:39], v[40:41], v[10:11]
	v_fma_f64 v[60:61], v[24:25], v[10:11], -v[22:23]
	s_waitcnt lgkmcnt(0)
	v_mul_f64 v[40:41], v[18:19], v[12:13]
	v_mul_f64 v[62:63], v[20:21], v[12:13]
	;; [unrolled: 1-line block ×4, first 2 shown]
	v_fmac_f64_e32 v[40:41], v[46:47], v[10:11]
	v_fmac_f64_e32 v[62:63], v[48:49], v[10:11]
	v_fma_f64 v[64:65], v[18:19], v[10:11], -v[22:23]
	v_fma_f64 v[66:67], v[20:21], v[10:11], -v[12:13]
	ds_read2_b64 v[10:13], v57 offset1:56
	v_add_f64 v[14:15], v[26:27], -v[14:15]
	v_fma_f64 v[26:27], v[26:27], 2.0, -v[14:15]
	ds_read2_b64 v[18:21], v57 offset0:112 offset1:168
	ds_read2_b64 v[22:25], v76 offset0:96 offset1:152
	s_waitcnt lgkmcnt(0)
	; wave barrier
	s_waitcnt lgkmcnt(0)
	ds_write2_b64 v9, v[26:27], v[14:15] offset1:8
	v_add_f64 v[14:15], v[28:29], -v[50:51]
	v_fma_f64 v[26:27], v[28:29], 2.0, -v[14:15]
	v_and_or_b32 v28, v6, s2, v7
	v_lshl_add_u32 v68, v28, 3, 0
	s_movk_i32 s2, 0x1f0
	ds_write2_b64 v68, v[26:27], v[14:15] offset1:8
	v_add_f64 v[14:15], v[34:35], -v[32:33]
	v_add_f64 v[26:27], v[36:37], -v[38:39]
	;; [unrolled: 1-line block ×3, first 2 shown]
	v_and_or_b32 v30, v3, s2, v7
	v_fma_f64 v[28:29], v[34:35], 2.0, -v[14:15]
	v_fma_f64 v[32:33], v[36:37], 2.0, -v[26:27]
	v_add_f64 v[36:37], v[44:45], -v[62:63]
	v_lshl_add_u32 v62, v30, 3, 0
	ds_write2_b64 v62, v[28:29], v[14:15] offset1:8
	v_and_or_b32 v14, v2, s2, v7
	s_movk_i32 s2, 0x3f0
	v_lshl_add_u32 v63, v14, 3, 0
	v_and_or_b32 v14, v1, s2, v7
	s_movk_i32 s2, 0x2f0
	v_add_f64 v[34:35], v[42:43], -v[40:41]
	v_and_or_b32 v7, v4, s2, v7
	v_fma_f64 v[38:39], v[42:43], 2.0, -v[34:35]
	v_fma_f64 v[40:41], v[44:45], 2.0, -v[36:37]
	v_lshl_add_u32 v69, v14, 3, 0
	v_lshl_add_u32 v7, v7, 3, 0
	v_fma_f64 v[10:11], v[10:11], 2.0, -v[50:51]
	ds_write2_b64 v63, v[32:33], v[26:27] offset1:8
	ds_write2_b64 v69, v[38:39], v[34:35] offset1:8
	;; [unrolled: 1-line block ×3, first 2 shown]
	s_waitcnt lgkmcnt(0)
	; wave barrier
	s_waitcnt lgkmcnt(0)
	ds_read2_b64 v[26:29], v57 offset1:56
	ds_read2_b64 v[30:33], v75 offset0:80 offset1:136
	ds_read2_b64 v[34:37], v57 offset0:112 offset1:168
	;; [unrolled: 1-line block ×5, first 2 shown]
	s_waitcnt lgkmcnt(0)
	; wave barrier
	s_waitcnt lgkmcnt(0)
	ds_write2_b64 v9, v[10:11], v[50:51] offset1:8
	v_add_f64 v[10:11], v[12:13], -v[52:53]
	v_fma_f64 v[12:13], v[12:13], 2.0, -v[10:11]
	ds_write2_b64 v68, v[12:13], v[10:11] offset1:8
	v_add_f64 v[10:11], v[18:19], -v[54:55]
	v_add_f64 v[12:13], v[20:21], -v[60:61]
	v_fma_f64 v[14:15], v[18:19], 2.0, -v[10:11]
	v_fma_f64 v[18:19], v[20:21], 2.0, -v[12:13]
	v_add_f64 v[20:21], v[22:23], -v[64:65]
	v_add_f64 v[50:51], v[24:25], -v[66:67]
	v_and_b32_e32 v9, 15, v17
	v_fma_f64 v[22:23], v[22:23], 2.0, -v[20:21]
	v_fma_f64 v[24:25], v[24:25], 2.0, -v[50:51]
	ds_write2_b64 v62, v[14:15], v[10:11] offset1:8
	ds_write2_b64 v63, v[18:19], v[12:13] offset1:8
	;; [unrolled: 1-line block ×4, first 2 shown]
	v_lshlrev_b32_e32 v7, 4, v9
	v_and_b32_e32 v68, 15, v56
	s_waitcnt lgkmcnt(0)
	; wave barrier
	s_waitcnt lgkmcnt(0)
	global_load_dwordx4 v[10:13], v7, s[4:5] offset:224
	v_lshlrev_b32_e32 v7, 4, v68
	global_load_dwordx4 v[18:21], v7, s[4:5] offset:224
	v_lshlrev_b32_e32 v7, 4, v0
	global_load_dwordx2 v[14:15], v7, s[4:5] offset:232
	global_load_dwordx4 v[22:25], v7, s[4:5] offset:224
	v_and_b32_e32 v7, 15, v74
	v_lshlrev_b32_e32 v50, 4, v7
	global_load_dwordx2 v[54:55], v50, s[4:5] offset:224
	ds_read2_b64 v[50:53], v75 offset0:192 offset1:248
	s_movk_i32 s2, 0x60
	v_and_or_b32 v5, v5, s2, v68
	s_movk_i32 s2, 0xe0
	s_waitcnt vmcnt(4) lgkmcnt(0)
	v_mul_f64 v[60:61], v[52:53], v[12:13]
	v_mul_f64 v[12:13], v[40:41], v[12:13]
	v_fmac_f64_e32 v[60:61], v[40:41], v[10:11]
	v_fma_f64 v[52:53], v[52:53], v[10:11], -v[12:13]
	s_waitcnt vmcnt(3)
	v_mul_f64 v[62:63], v[50:51], v[20:21]
	ds_read2_b64 v[10:13], v75 offset0:80 offset1:136
	v_fmac_f64_e32 v[62:63], v[38:39], v[18:19]
	v_mul_f64 v[38:39], v[38:39], v[20:21]
	v_fma_f64 v[50:51], v[50:51], v[18:19], -v[38:39]
	ds_read2_b64 v[38:41], v8 offset0:48 offset1:104
	s_waitcnt lgkmcnt(1)
	v_mul_f64 v[64:65], v[10:11], v[20:21]
	v_fmac_f64_e32 v[64:65], v[30:31], v[18:19]
	v_mul_f64 v[30:31], v[30:31], v[20:21]
	v_fma_f64 v[30:31], v[10:11], v[18:19], -v[30:31]
	s_waitcnt lgkmcnt(0)
	v_mul_f64 v[66:67], v[38:39], v[20:21]
	v_mul_f64 v[10:11], v[46:47], v[20:21]
	v_fmac_f64_e32 v[66:67], v[46:47], v[18:19]
	v_fma_f64 v[46:47], v[38:39], v[18:19], -v[10:11]
	s_waitcnt vmcnt(2)
	v_mul_f64 v[10:11], v[48:49], v[14:15]
	v_mul_f64 v[38:39], v[40:41], v[14:15]
	s_waitcnt vmcnt(1)
	v_fma_f64 v[14:15], v[40:41], v[22:23], -v[10:11]
	v_mul_f64 v[40:41], v[12:13], v[24:25]
	v_mul_f64 v[10:11], v[32:33], v[24:25]
	v_fmac_f64_e32 v[38:39], v[48:49], v[22:23]
	s_waitcnt vmcnt(0)
	v_fmac_f64_e32 v[40:41], v[32:33], v[54:55]
	v_fma_f64 v[48:49], v[12:13], v[54:55], -v[10:11]
	ds_read2_b64 v[10:13], v57 offset1:56
	v_add_f64 v[32:33], v[26:27], -v[64:65]
	v_lshl_add_u32 v64, v5, 3, 0
	v_fma_f64 v[26:27], v[26:27], 2.0, -v[32:33]
	ds_read2_b64 v[18:21], v57 offset0:112 offset1:168
	ds_read2_b64 v[22:25], v76 offset0:96 offset1:152
	s_waitcnt lgkmcnt(0)
	; wave barrier
	s_waitcnt lgkmcnt(0)
	ds_write2_b64 v64, v[26:27], v[32:33] offset1:16
	v_add_f64 v[26:27], v[28:29], -v[40:41]
	v_and_or_b32 v5, v6, s2, v7
	s_movk_i32 s2, 0x1e0
	v_fma_f64 v[28:29], v[28:29], 2.0, -v[26:27]
	v_lshl_add_u32 v65, v5, 3, 0
	v_and_or_b32 v3, v3, s2, v68
	v_and_or_b32 v2, v2, s2, v9
	s_movk_i32 s2, 0x3e0
	ds_write2_b64 v65, v[28:29], v[26:27] offset1:16
	v_add_f64 v[28:29], v[36:37], -v[60:61]
	v_and_or_b32 v1, v1, s2, v68
	s_movk_i32 s2, 0x2e0
	v_add_f64 v[54:55], v[10:11], -v[30:31]
	v_add_f64 v[6:7], v[34:35], -v[62:63]
	v_fma_f64 v[30:31], v[36:37], 2.0, -v[28:29]
	v_add_f64 v[32:33], v[42:43], -v[66:67]
	v_add_f64 v[36:37], v[44:45], -v[38:39]
	v_and_or_b32 v0, v4, s2, v0
	v_fma_f64 v[26:27], v[34:35], 2.0, -v[6:7]
	v_fma_f64 v[34:35], v[42:43], 2.0, -v[32:33]
	;; [unrolled: 1-line block ×3, first 2 shown]
	v_lshl_add_u32 v60, v3, 3, 0
	v_lshl_add_u32 v9, v2, 3, 0
	;; [unrolled: 1-line block ×4, first 2 shown]
	v_fma_f64 v[10:11], v[10:11], 2.0, -v[54:55]
	ds_write2_b64 v60, v[26:27], v[6:7] offset1:16
	ds_write2_b64 v9, v[30:31], v[28:29] offset1:16
	;; [unrolled: 1-line block ×4, first 2 shown]
	s_waitcnt lgkmcnt(0)
	; wave barrier
	s_waitcnt lgkmcnt(0)
	ds_read2_b64 v[4:7], v57 offset1:56
	ds_read2_b64 v[26:29], v76 offset0:96 offset1:152
	ds_read2_b64 v[30:33], v75 offset0:192 offset1:248
	;; [unrolled: 1-line block ×5, first 2 shown]
	s_waitcnt lgkmcnt(0)
	; wave barrier
	s_waitcnt lgkmcnt(0)
	ds_write2_b64 v64, v[10:11], v[54:55] offset1:16
	v_add_f64 v[10:11], v[12:13], -v[48:49]
	v_fma_f64 v[12:13], v[12:13], 2.0, -v[10:11]
	v_add_f64 v[42:43], v[18:19], -v[50:51]
	v_add_f64 v[44:45], v[20:21], -v[52:53]
	;; [unrolled: 1-line block ×4, first 2 shown]
	v_fma_f64 v[18:19], v[18:19], 2.0, -v[42:43]
	v_fma_f64 v[20:21], v[20:21], 2.0, -v[44:45]
	;; [unrolled: 1-line block ×4, first 2 shown]
	ds_write2_b64 v65, v[12:13], v[10:11] offset1:16
	ds_write2_b64 v60, v[18:19], v[42:43] offset1:16
	;; [unrolled: 1-line block ×5, first 2 shown]
	v_lshlrev_b32_e32 v9, 5, v77
	s_waitcnt lgkmcnt(0)
	; wave barrier
	s_waitcnt lgkmcnt(0)
	global_load_dwordx4 v[10:13], v9, s[4:5] offset:480
	global_load_dwordx4 v[18:21], v9, s[4:5] offset:496
	v_lshlrev_b32_e32 v9, 5, v90
	global_load_dwordx4 v[42:45], v9, s[4:5] offset:480
	global_load_dwordx4 v[60:63], v9, s[4:5] offset:496
	v_lshlrev_b32_e32 v9, 5, v91
	global_load_dwordx4 v[70:73], v9, s[4:5] offset:480
	v_lshlrev_b32_e32 v14, 5, v92
	global_load_dwordx4 v[78:81], v14, s[4:5] offset:480
	global_load_dwordx4 v[82:85], v9, s[4:5] offset:496
	;; [unrolled: 1-line block ×3, first 2 shown]
	ds_read2_b64 v[46:49], v76 offset0:96 offset1:152
	ds_read2_b64 v[64:67], v75 offset0:192 offset1:248
	v_cmp_gt_u32_e64 s[2:3], 40, v56
	s_waitcnt vmcnt(7) lgkmcnt(1)
	v_mul_f64 v[22:23], v[46:47], v[12:13]
	v_mul_f64 v[12:13], v[26:27], v[12:13]
	v_fmac_f64_e32 v[22:23], v[26:27], v[10:11]
	v_fma_f64 v[52:53], v[46:47], v[10:11], -v[12:13]
	s_waitcnt vmcnt(6)
	v_mul_f64 v[10:11], v[30:31], v[20:21]
	s_waitcnt lgkmcnt(0)
	v_mul_f64 v[46:47], v[64:65], v[20:21]
	v_fma_f64 v[64:65], v[64:65], v[18:19], -v[10:11]
	s_waitcnt vmcnt(5)
	v_mul_f64 v[10:11], v[28:29], v[44:45]
	v_fma_f64 v[54:55], v[48:49], v[42:43], -v[10:11]
	ds_read2_b64 v[10:13], v75 offset0:80 offset1:136
	s_waitcnt vmcnt(4)
	v_mul_f64 v[14:15], v[32:33], v[62:63]
	v_fma_f64 v[68:69], v[66:67], v[60:61], -v[14:15]
	s_waitcnt vmcnt(3)
	v_mul_f64 v[14:15], v[34:35], v[72:73]
	v_mul_f64 v[20:21], v[48:49], v[44:45]
	;; [unrolled: 1-line block ×3, first 2 shown]
	s_waitcnt lgkmcnt(0)
	v_mul_f64 v[24:25], v[10:11], v[72:73]
	v_fma_f64 v[62:63], v[10:11], v[70:71], -v[14:15]
	ds_read2_b64 v[8:11], v8 offset0:48 offset1:104
	s_waitcnt vmcnt(2)
	v_mul_f64 v[14:15], v[36:37], v[80:81]
	v_fmac_f64_e32 v[46:47], v[30:31], v[18:19]
	v_mul_f64 v[30:31], v[12:13], v[80:81]
	v_fma_f64 v[44:45], v[12:13], v[78:79], -v[14:15]
	s_waitcnt vmcnt(1)
	v_mul_f64 v[12:13], v[38:39], v[84:85]
	s_waitcnt lgkmcnt(0)
	v_mul_f64 v[66:67], v[8:9], v[84:85]
	v_fma_f64 v[72:73], v[8:9], v[82:83], -v[12:13]
	s_waitcnt vmcnt(0)
	v_mul_f64 v[8:9], v[40:41], v[88:89]
	v_fmac_f64_e32 v[24:25], v[34:35], v[70:71]
	v_fma_f64 v[70:71], v[10:11], v[86:87], -v[8:9]
	v_add_f64 v[8:9], v[4:5], v[22:23]
	v_add_f64 v[12:13], v[8:9], v[46:47]
	v_lshrrev_b32_e32 v8, 5, v56
	v_mul_u32_u24_e32 v8, 0x60, v8
	v_or_b32_e32 v14, v8, v77
	v_add_f64 v[8:9], v[22:23], v[46:47]
	v_fma_f64 v[4:5], -0.5, v[8:9], v[4:5]
	v_lshl_add_u32 v77, v14, 3, 0
	v_add_f64 v[14:15], v[52:53], -v[64:65]
	v_fma_f64 v[18:19], s[6:7], v[14:15], v[4:5]
	v_fmac_f64_e32 v[4:5], s[8:9], v[14:15]
	v_fmac_f64_e32 v[20:21], v[28:29], v[42:43]
	;; [unrolled: 1-line block ×3, first 2 shown]
	v_mul_f64 v[50:51], v[10:11], v[88:89]
	ds_read2_b64 v[26:29], v57 offset1:56
	ds_read2_b64 v[8:11], v57 offset0:112 offset1:168
	s_waitcnt lgkmcnt(0)
	; wave barrier
	s_waitcnt lgkmcnt(0)
	ds_write_b64 v77, v[4:5] offset:512
	v_lshrrev_b32_e32 v4, 5, v74
	ds_write2_b64 v77, v[12:13], v[18:19] offset1:32
	v_add_f64 v[12:13], v[6:7], v[20:21]
	v_add_f64 v[14:15], v[20:21], v[48:49]
	v_mul_u32_u24_e32 v4, 0x60, v4
	v_fmac_f64_e32 v[6:7], -0.5, v[14:15]
	v_or_b32_e32 v14, v4, v90
	v_add_f64 v[4:5], v[12:13], v[48:49]
	v_add_f64 v[12:13], v[54:55], -v[68:69]
	v_fmac_f64_e32 v[30:31], v[36:37], v[78:79]
	v_fmac_f64_e32 v[66:67], v[38:39], v[82:83]
	v_lshl_add_u32 v78, v14, 3, 0
	v_fma_f64 v[14:15], s[6:7], v[12:13], v[6:7]
	ds_write2_b64 v78, v[4:5], v[14:15] offset1:32
	v_fmac_f64_e32 v[6:7], s[8:9], v[12:13]
	v_add_f64 v[4:5], v[24:25], v[66:67]
	ds_write_b64 v78, v[6:7] offset:512
	v_fma_f64 v[6:7], -0.5, v[4:5], v[0:1]
	v_add_f64 v[12:13], v[62:63], -v[72:73]
	v_add_f64 v[0:1], v[0:1], v[24:25]
	v_fma_f64 v[4:5], s[6:7], v[12:13], v[6:7]
	v_add_f64 v[0:1], v[0:1], v[66:67]
	v_lshl_add_u32 v79, v16, 3, 0
	v_fmac_f64_e32 v[50:51], v[40:41], v[86:87]
	ds_write2_b64 v79, v[0:1], v[4:5] offset1:32
	v_lshrrev_b32_e32 v0, 5, v17
	v_add_f64 v[14:15], v[30:31], v[50:51]
	v_mul_u32_u24_e32 v0, 0x60, v0
	v_fmac_f64_e32 v[6:7], s[8:9], v[12:13]
	v_add_f64 v[12:13], v[2:3], v[30:31]
	v_fmac_f64_e32 v[2:3], -0.5, v[14:15]
	v_add_f64 v[18:19], v[44:45], -v[70:71]
	v_or_b32_e32 v0, v0, v92
	v_add_f64 v[12:13], v[12:13], v[50:51]
	v_fma_f64 v[14:15], s[6:7], v[18:19], v[2:3]
	v_lshl_add_u32 v80, v0, 3, 0
	v_fmac_f64_e32 v[2:3], s[8:9], v[18:19]
	ds_write_b64 v79, v[6:7] offset:512
	ds_write2_b64 v80, v[12:13], v[14:15] offset1:32
	ds_write_b64 v80, v[2:3] offset:512
	s_waitcnt lgkmcnt(0)
	; wave barrier
	s_waitcnt lgkmcnt(0)
	ds_read_b64 v[60:61], v57 offset:4608
	ds_read2_b64 v[32:35], v57 offset1:96
	ds_read2_b64 v[36:39], v76 offset0:64 offset1:160
	ds_read2_b64 v[40:43], v75 offset0:128 offset1:224
                                        ; implicit-def: $vgpr0_vgpr1
                                        ; implicit-def: $vgpr18_vgpr19
	s_and_saveexec_b64 s[10:11], s[2:3]
	s_cbranch_execz .LBB0_13
; %bb.12:
	v_add_u32_e32 v0, 0xc00, v57
	ds_read2_b64 v[4:7], v57 offset0:56 offset1:152
	ds_read2_b64 v[12:15], v76 offset0:120 offset1:216
	;; [unrolled: 1-line block ×3, first 2 shown]
	ds_read_b64 v[0:1], v57 offset:5056
	s_waitcnt lgkmcnt(1)
	v_mov_b64_e32 v[2:3], v[16:17]
.LBB0_13:
	s_or_b64 exec, exec, s[10:11]
	v_add_f64 v[16:17], v[26:27], v[52:53]
	v_add_f64 v[52:53], v[52:53], v[64:65]
	v_fma_f64 v[52:53], -0.5, v[52:53], v[26:27]
	v_add_f64 v[22:23], v[22:23], -v[46:47]
	v_fma_f64 v[46:47], s[8:9], v[22:23], v[52:53]
	v_fmac_f64_e32 v[52:53], s[6:7], v[22:23]
	v_add_f64 v[22:23], v[28:29], v[54:55]
	v_add_f64 v[16:17], v[16:17], v[64:65]
	v_add_f64 v[64:65], v[22:23], v[68:69]
	v_add_f64 v[22:23], v[54:55], v[68:69]
	v_fmac_f64_e32 v[28:29], -0.5, v[22:23]
	v_add_f64 v[20:21], v[20:21], -v[48:49]
	v_fma_f64 v[48:49], s[8:9], v[20:21], v[28:29]
	v_fmac_f64_e32 v[28:29], s[6:7], v[20:21]
	v_add_f64 v[20:21], v[8:9], v[62:63]
	v_add_f64 v[54:55], v[20:21], v[72:73]
	;; [unrolled: 1-line block ×3, first 2 shown]
	v_fma_f64 v[22:23], -0.5, v[20:21], v[8:9]
	v_add_f64 v[8:9], v[24:25], -v[66:67]
	v_fma_f64 v[20:21], s[8:9], v[8:9], v[22:23]
	v_fmac_f64_e32 v[22:23], s[6:7], v[8:9]
	v_add_f64 v[8:9], v[10:11], v[44:45]
	v_add_f64 v[24:25], v[8:9], v[70:71]
	;; [unrolled: 1-line block ×3, first 2 shown]
	v_fmac_f64_e32 v[10:11], -0.5, v[8:9]
	v_add_f64 v[8:9], v[30:31], -v[50:51]
	v_fma_f64 v[26:27], s[8:9], v[8:9], v[10:11]
	v_fmac_f64_e32 v[10:11], s[6:7], v[8:9]
	s_waitcnt lgkmcnt(0)
	; wave barrier
	s_waitcnt lgkmcnt(0)
	ds_write2_b64 v77, v[16:17], v[46:47] offset1:32
	ds_write_b64 v77, v[52:53] offset:512
	ds_write2_b64 v78, v[64:65], v[48:49] offset1:32
	ds_write_b64 v78, v[28:29] offset:512
	;; [unrolled: 2-line block ×4, first 2 shown]
	s_waitcnt lgkmcnt(0)
	; wave barrier
	s_waitcnt lgkmcnt(0)
	ds_read2_b64 v[44:47], v57 offset1:96
	ds_read2_b64 v[48:51], v76 offset0:64 offset1:160
	ds_read2_b64 v[52:55], v75 offset0:128 offset1:224
	ds_read_b64 v[16:17], v57 offset:4608
                                        ; implicit-def: $vgpr8_vgpr9
                                        ; implicit-def: $vgpr30_vgpr31
	s_and_saveexec_b64 s[6:7], s[2:3]
	s_cbranch_execz .LBB0_15
; %bb.14:
	v_add_u32_e32 v8, 0x400, v57
	ds_read2_b64 v[24:27], v8 offset0:120 offset1:216
	v_add_u32_e32 v8, 0xc00, v57
	ds_read2_b64 v[20:23], v57 offset0:56 offset1:152
	ds_read2_b64 v[28:31], v8 offset0:56 offset1:152
	ds_read_b64 v[8:9], v57 offset:5056
	s_waitcnt lgkmcnt(1)
	v_mov_b64_e32 v[10:11], v[28:29]
.LBB0_15:
	s_or_b64 exec, exec, s[6:7]
	s_and_saveexec_b64 s[6:7], s[0:1]
	s_cbranch_execz .LBB0_18
; %bb.16:
	v_mul_u32_u24_e32 v28, 6, v56
	v_lshlrev_b32_e32 v28, 4, v28
	global_load_dwordx4 v[62:65], v28, s[4:5] offset:1504
	global_load_dwordx4 v[66:69], v28, s[4:5] offset:1584
	;; [unrolled: 1-line block ×6, first 2 shown]
	s_mov_b32 s8, 0xe976ee23
	s_mov_b32 s9, 0x3fe11646
	;; [unrolled: 1-line block ×20, first 2 shown]
	v_mov_b32_e32 v57, 0
	s_movk_i32 s24, 0x1000
	s_waitcnt vmcnt(5) lgkmcnt(3)
	v_mul_f64 v[28:29], v[46:47], v[64:65]
	s_waitcnt vmcnt(4) lgkmcnt(0)
	v_mul_f64 v[88:89], v[16:17], v[68:69]
	s_waitcnt vmcnt(3)
	v_mul_f64 v[90:91], v[52:53], v[72:73]
	s_waitcnt vmcnt(2)
	;; [unrolled: 2-line block ×4, first 2 shown]
	v_mul_f64 v[96:97], v[54:55], v[86:87]
	v_mul_f64 v[68:69], v[60:61], v[68:69]
	v_mul_f64 v[64:65], v[34:35], v[64:65]
	v_mul_f64 v[86:87], v[42:43], v[86:87]
	v_mul_f64 v[82:83], v[36:37], v[82:83]
	v_mul_f64 v[78:79], v[38:39], v[78:79]
	v_mul_f64 v[72:73], v[40:41], v[72:73]
	v_fmac_f64_e32 v[28:29], v[34:35], v[62:63]
	v_fmac_f64_e32 v[88:89], v[60:61], v[66:67]
	;; [unrolled: 1-line block ×6, first 2 shown]
	v_fma_f64 v[16:17], v[16:17], v[66:67], -v[68:69]
	v_fma_f64 v[34:35], v[46:47], v[62:63], -v[64:65]
	;; [unrolled: 1-line block ×6, first 2 shown]
	v_add_f64 v[46:47], v[28:29], -v[88:89]
	v_add_f64 v[48:49], v[90:91], -v[92:93]
	;; [unrolled: 1-line block ×3, first 2 shown]
	v_add_f64 v[52:53], v[34:35], v[16:17]
	v_add_f64 v[54:55], v[38:39], v[36:37]
	;; [unrolled: 1-line block ×5, first 2 shown]
	v_add_f64 v[16:17], v[34:35], -v[16:17]
	v_add_f64 v[34:35], v[42:43], -v[40:41]
	;; [unrolled: 1-line block ×5, first 2 shown]
	v_add_f64 v[38:39], v[48:49], v[50:51]
	v_add_f64 v[48:49], v[52:53], v[54:55]
	v_add_f64 v[68:69], v[60:61], -v[54:55]
	v_add_f64 v[76:77], v[64:65], -v[62:63]
	;; [unrolled: 1-line block ×4, first 2 shown]
	v_add_f64 v[34:35], v[34:35], v[40:41]
	v_mul_f64 v[82:83], v[36:37], s[8:9]
	v_add_f64 v[36:37], v[60:61], v[48:49]
	v_add_f64 v[66:67], v[52:53], -v[60:61]
	v_mul_f64 v[60:61], v[68:69], s[12:13]
	v_mul_f64 v[68:69], v[76:77], s[12:13]
	v_add_f64 v[76:77], v[16:17], v[34:35]
	v_add_f64 v[34:35], v[44:45], v[36:37]
	;; [unrolled: 1-line block ×3, first 2 shown]
	v_mov_b64_e32 v[86:87], v[34:35]
	v_add_f64 v[70:71], v[28:29], v[62:63]
	v_fma_f64 v[44:45], s[14:15], v[66:67], v[60:61]
	v_fmac_f64_e32 v[86:87], s[10:11], v[36:37]
	v_add_f64 v[84:85], v[46:47], v[38:39]
	v_add_f64 v[38:39], v[64:65], v[70:71]
	;; [unrolled: 1-line block ×3, first 2 shown]
	v_add_f64 v[44:45], v[50:51], -v[46:47]
	v_add_f64 v[72:73], v[28:29], -v[64:65]
	v_add_f64 v[32:33], v[32:33], v[38:39]
	v_mul_f64 v[46:47], v[44:45], s[16:17]
	v_mul_f64 v[48:49], v[66:67], s[14:15]
	;; [unrolled: 1-line block ×4, first 2 shown]
	v_mov_b64_e32 v[88:89], v[32:33]
	v_fma_f64 v[92:93], v[42:43], s[18:19], -v[46:47]
	v_add_f64 v[46:47], v[54:55], -v[52:53]
	v_add_f64 v[28:29], v[62:63], -v[28:29]
	v_add_f64 v[16:17], v[40:41], -v[16:17]
	v_fma_f64 v[80:81], s[6:7], v[42:43], v[82:83]
	v_fmac_f64_e32 v[88:89], s[10:11], v[38:39]
	v_fma_f64 v[42:43], v[46:47], s[20:21], -v[48:49]
	v_fma_f64 v[48:49], v[28:29], s[20:21], -v[64:65]
	v_mul_f64 v[40:41], v[16:17], s[16:17]
	v_fma_f64 v[46:47], v[46:47], s[22:23], -v[60:61]
	v_fma_f64 v[50:51], v[44:45], s[16:17], -v[82:83]
	v_fma_f64 v[28:29], v[28:29], s[22:23], -v[68:69]
	v_fma_f64 v[16:17], v[16:17], s[16:17], -v[70:71]
	v_fma_f64 v[66:67], s[14:15], v[72:73], v[68:69]
	v_fma_f64 v[72:73], s[6:7], v[78:79], v[70:71]
	v_add_f64 v[62:63], v[48:49], v[88:89]
	v_fma_f64 v[64:65], v[78:79], s[18:19], -v[40:41]
	v_add_f64 v[48:49], v[46:47], v[86:87]
	v_fmac_f64_e32 v[50:51], s[0:1], v[84:85]
	v_add_f64 v[28:29], v[28:29], v[88:89]
	v_fmac_f64_e32 v[16:17], s[0:1], v[76:77]
	v_fmac_f64_e32 v[80:81], s[0:1], v[84:85]
	v_add_f64 v[66:67], v[66:67], v[88:89]
	v_fmac_f64_e32 v[72:73], s[0:1], v[76:77]
	;; [unrolled: 3-line block ×3, first 2 shown]
	v_add_f64 v[46:47], v[48:49], -v[50:51]
	v_add_f64 v[44:45], v[16:17], v[28:29]
	v_add_f64 v[50:51], v[50:51], v[48:49]
	v_add_f64 v[48:49], v[28:29], -v[16:17]
	v_lshl_add_u64 v[16:17], v[56:57], 4, v[58:59]
	v_add_f64 v[42:43], v[92:93], v[52:53]
	v_add_f64 v[40:41], v[62:63], -v[64:65]
	v_add_f64 v[54:55], v[52:53], -v[92:93]
	v_add_f64 v[52:53], v[64:65], v[62:63]
	v_add_f64 v[62:63], v[90:91], -v[80:81]
	v_add_f64 v[60:61], v[72:73], v[66:67]
	global_store_dwordx4 v[16:17], v[32:35], off
	global_store_dwordx4 v[16:17], v[60:63], off offset:1536
	global_store_dwordx4 v[16:17], v[52:55], off offset:3072
	v_add_co_u32_e32 v28, vcc, s24, v16
	v_or_b32_e32 v32, 0x180, v56
	v_mov_b32_e32 v33, v57
	v_addc_co_u32_e32 v29, vcc, 0, v17, vcc
	v_lshl_add_u64 v[32:33], v[32:33], 4, v[58:59]
	global_store_dwordx4 v[28:29], v[48:51], off offset:512
	global_store_dwordx4 v[32:33], v[44:47], off
	global_store_dwordx4 v[28:29], v[40:43], off offset:3584
	v_add_co_u32_e32 v32, vcc, 0x2000, v16
	v_add_f64 v[38:39], v[80:81], v[90:91]
	v_add_f64 v[36:37], v[66:67], -v[72:73]
	v_addc_co_u32_e32 v33, vcc, 0, v17, vcc
	global_store_dwordx4 v[32:33], v[36:39], off offset:1024
	s_and_b64 exec, exec, s[2:3]
	s_cbranch_execz .LBB0_18
; %bb.17:
	v_subrev_u32_e32 v32, 40, v56
	v_cndmask_b32_e64 v32, v32, v74, s[2:3]
	v_mul_i32_i24_e32 v56, 6, v32
	v_lshl_add_u64 v[56:57], v[56:57], 4, s[4:5]
	global_load_dwordx4 v[32:35], v[56:57], off offset:1504
	global_load_dwordx4 v[36:39], v[56:57], off offset:1520
	;; [unrolled: 1-line block ×6, first 2 shown]
	s_waitcnt vmcnt(5)
	v_mul_f64 v[56:57], v[22:23], v[34:35]
	v_mul_f64 v[34:35], v[6:7], v[34:35]
	s_waitcnt vmcnt(4)
	v_mul_f64 v[58:59], v[24:25], v[38:39]
	v_mul_f64 v[38:39], v[12:13], v[38:39]
	;; [unrolled: 3-line block ×5, first 2 shown]
	v_mul_f64 v[60:61], v[26:27], v[42:43]
	v_mul_f64 v[42:43], v[14:15], v[42:43]
	v_fmac_f64_e32 v[56:57], v[6:7], v[32:33]
	v_fma_f64 v[6:7], v[22:23], v[32:33], -v[34:35]
	v_fmac_f64_e32 v[58:59], v[12:13], v[36:37]
	v_fma_f64 v[12:13], v[24:25], v[36:37], -v[38:39]
	;; [unrolled: 2-line block ×6, first 2 shown]
	v_add_f64 v[8:9], v[56:57], v[66:67]
	v_add_f64 v[18:19], v[6:7], v[0:1]
	v_add_f64 v[0:1], v[6:7], -v[0:1]
	v_add_f64 v[6:7], v[58:59], v[64:65]
	v_add_f64 v[24:25], v[12:13], v[10:11]
	v_add_f64 v[26:27], v[58:59], -v[64:65]
	v_add_f64 v[10:11], v[12:13], -v[10:11]
	v_add_f64 v[12:13], v[60:61], v[62:63]
	v_add_f64 v[30:31], v[14:15], v[2:3]
	v_add_f64 v[32:33], v[62:63], -v[60:61]
	;; [unrolled: 4-line block ×3, first 2 shown]
	v_add_f64 v[36:37], v[6:7], -v[8:9]
	v_add_f64 v[38:39], v[24:25], -v[18:19]
	;; [unrolled: 1-line block ×6, first 2 shown]
	v_add_f64 v[40:41], v[32:33], v[26:27]
	v_add_f64 v[42:43], v[2:3], v[10:11]
	v_add_f64 v[44:45], v[32:33], -v[26:27]
	v_add_f64 v[46:47], v[2:3], -v[10:11]
	v_add_f64 v[12:13], v[12:13], v[14:15]
	v_add_f64 v[14:15], v[30:31], v[34:35]
	v_add_f64 v[32:33], v[22:23], -v[32:33]
	v_add_f64 v[48:49], v[0:1], -v[2:3]
	;; [unrolled: 1-line block ×4, first 2 shown]
	v_add_f64 v[22:23], v[40:41], v[22:23]
	v_add_f64 v[30:31], v[42:43], v[0:1]
	v_mul_f64 v[8:9], v[8:9], s[14:15]
	v_mul_f64 v[18:19], v[18:19], s[14:15]
	;; [unrolled: 1-line block ×6, first 2 shown]
	v_add_f64 v[0:1], v[4:5], v[12:13]
	v_add_f64 v[2:3], v[20:21], v[14:15]
	v_mul_f64 v[46:47], v[26:27], s[16:17]
	v_mul_f64 v[50:51], v[10:11], s[16:17]
	v_fma_f64 v[4:5], s[12:13], v[6:7], v[8:9]
	v_fma_f64 v[6:7], v[36:37], s[22:23], -v[34:35]
	v_fma_f64 v[20:21], v[38:39], s[22:23], -v[40:41]
	;; [unrolled: 1-line block ×3, first 2 shown]
	v_fmac_f64_e32 v[18:19], s[12:13], v[24:25]
	v_fma_f64 v[24:25], v[26:27], s[16:17], -v[42:43]
	v_fma_f64 v[26:27], v[10:11], s[16:17], -v[44:45]
	v_mov_b64_e32 v[10:11], v[0:1]
	v_mov_b64_e32 v[40:41], v[2:3]
	v_fma_f64 v[8:9], v[36:37], s[20:21], -v[8:9]
	v_fma_f64 v[36:37], s[6:7], v[32:33], v[42:43]
	v_fmac_f64_e32 v[44:45], s[6:7], v[48:49]
	v_fma_f64 v[32:33], v[32:33], s[18:19], -v[46:47]
	v_fma_f64 v[38:39], v[48:49], s[18:19], -v[50:51]
	v_fmac_f64_e32 v[10:11], s[10:11], v[12:13]
	v_fmac_f64_e32 v[40:41], s[10:11], v[14:15]
	v_add_f64 v[42:43], v[4:5], v[10:11]
	v_add_f64 v[46:47], v[18:19], v[40:41]
	;; [unrolled: 1-line block ×6, first 2 shown]
	v_fmac_f64_e32 v[36:37], s[0:1], v[22:23]
	v_fmac_f64_e32 v[44:45], s[0:1], v[30:31]
	;; [unrolled: 1-line block ×6, first 2 shown]
	v_add_f64 v[4:5], v[44:45], v[42:43]
	v_add_f64 v[6:7], v[46:47], -v[36:37]
	v_add_f64 v[8:9], v[38:39], v[48:49]
	v_add_f64 v[10:11], v[34:35], -v[32:33]
	v_add_f64 v[12:13], v[18:19], -v[26:27]
	v_add_f64 v[14:15], v[24:25], v[20:21]
	v_add_f64 v[18:19], v[26:27], v[18:19]
	v_add_f64 v[20:21], v[20:21], -v[24:25]
	global_store_dwordx4 v[16:17], v[0:3], off offset:896
	global_store_dwordx4 v[16:17], v[4:7], off offset:2432
	;; [unrolled: 1-line block ×5, first 2 shown]
	v_add_co_u32_e32 v0, vcc, 0x2000, v16
	v_add_f64 v[22:23], v[48:49], -v[38:39]
	v_add_f64 v[24:25], v[32:33], v[34:35]
	v_addc_co_u32_e32 v1, vcc, 0, v17, vcc
	v_add_f64 v[30:31], v[42:43], -v[44:45]
	v_add_f64 v[32:33], v[36:37], v[46:47]
	global_store_dwordx4 v[0:1], v[22:25], off offset:384
	global_store_dwordx4 v[0:1], v[30:33], off offset:1920
.LBB0_18:
	s_endpgm
	.section	.rodata,"a",@progbits
	.p2align	6, 0x0
	.amdhsa_kernel fft_rtc_back_len672_factors_2_2_2_2_2_3_7_wgs_56_tpt_56_halfLds_dp_ip_CI_unitstride_sbrr_dirReg
		.amdhsa_group_segment_fixed_size 0
		.amdhsa_private_segment_fixed_size 0
		.amdhsa_kernarg_size 88
		.amdhsa_user_sgpr_count 2
		.amdhsa_user_sgpr_dispatch_ptr 0
		.amdhsa_user_sgpr_queue_ptr 0
		.amdhsa_user_sgpr_kernarg_segment_ptr 1
		.amdhsa_user_sgpr_dispatch_id 0
		.amdhsa_user_sgpr_kernarg_preload_length 0
		.amdhsa_user_sgpr_kernarg_preload_offset 0
		.amdhsa_user_sgpr_private_segment_size 0
		.amdhsa_uses_dynamic_stack 0
		.amdhsa_enable_private_segment 0
		.amdhsa_system_sgpr_workgroup_id_x 1
		.amdhsa_system_sgpr_workgroup_id_y 0
		.amdhsa_system_sgpr_workgroup_id_z 0
		.amdhsa_system_sgpr_workgroup_info 0
		.amdhsa_system_vgpr_workitem_id 0
		.amdhsa_next_free_vgpr 98
		.amdhsa_next_free_sgpr 25
		.amdhsa_accum_offset 100
		.amdhsa_reserve_vcc 1
		.amdhsa_float_round_mode_32 0
		.amdhsa_float_round_mode_16_64 0
		.amdhsa_float_denorm_mode_32 3
		.amdhsa_float_denorm_mode_16_64 3
		.amdhsa_dx10_clamp 1
		.amdhsa_ieee_mode 1
		.amdhsa_fp16_overflow 0
		.amdhsa_tg_split 0
		.amdhsa_exception_fp_ieee_invalid_op 0
		.amdhsa_exception_fp_denorm_src 0
		.amdhsa_exception_fp_ieee_div_zero 0
		.amdhsa_exception_fp_ieee_overflow 0
		.amdhsa_exception_fp_ieee_underflow 0
		.amdhsa_exception_fp_ieee_inexact 0
		.amdhsa_exception_int_div_zero 0
	.end_amdhsa_kernel
	.text
.Lfunc_end0:
	.size	fft_rtc_back_len672_factors_2_2_2_2_2_3_7_wgs_56_tpt_56_halfLds_dp_ip_CI_unitstride_sbrr_dirReg, .Lfunc_end0-fft_rtc_back_len672_factors_2_2_2_2_2_3_7_wgs_56_tpt_56_halfLds_dp_ip_CI_unitstride_sbrr_dirReg
                                        ; -- End function
	.section	.AMDGPU.csdata,"",@progbits
; Kernel info:
; codeLenInByte = 8248
; NumSgprs: 31
; NumVgprs: 98
; NumAgprs: 0
; TotalNumVgprs: 98
; ScratchSize: 0
; MemoryBound: 1
; FloatMode: 240
; IeeeMode: 1
; LDSByteSize: 0 bytes/workgroup (compile time only)
; SGPRBlocks: 3
; VGPRBlocks: 12
; NumSGPRsForWavesPerEU: 31
; NumVGPRsForWavesPerEU: 98
; AccumOffset: 100
; Occupancy: 4
; WaveLimiterHint : 1
; COMPUTE_PGM_RSRC2:SCRATCH_EN: 0
; COMPUTE_PGM_RSRC2:USER_SGPR: 2
; COMPUTE_PGM_RSRC2:TRAP_HANDLER: 0
; COMPUTE_PGM_RSRC2:TGID_X_EN: 1
; COMPUTE_PGM_RSRC2:TGID_Y_EN: 0
; COMPUTE_PGM_RSRC2:TGID_Z_EN: 0
; COMPUTE_PGM_RSRC2:TIDIG_COMP_CNT: 0
; COMPUTE_PGM_RSRC3_GFX90A:ACCUM_OFFSET: 24
; COMPUTE_PGM_RSRC3_GFX90A:TG_SPLIT: 0
	.text
	.p2alignl 6, 3212836864
	.fill 256, 4, 3212836864
	.type	__hip_cuid_c48d1c93652acbe9,@object ; @__hip_cuid_c48d1c93652acbe9
	.section	.bss,"aw",@nobits
	.globl	__hip_cuid_c48d1c93652acbe9
__hip_cuid_c48d1c93652acbe9:
	.byte	0                               ; 0x0
	.size	__hip_cuid_c48d1c93652acbe9, 1

	.ident	"AMD clang version 19.0.0git (https://github.com/RadeonOpenCompute/llvm-project roc-6.4.0 25133 c7fe45cf4b819c5991fe208aaa96edf142730f1d)"
	.section	".note.GNU-stack","",@progbits
	.addrsig
	.addrsig_sym __hip_cuid_c48d1c93652acbe9
	.amdgpu_metadata
---
amdhsa.kernels:
  - .agpr_count:     0
    .args:
      - .actual_access:  read_only
        .address_space:  global
        .offset:         0
        .size:           8
        .value_kind:     global_buffer
      - .offset:         8
        .size:           8
        .value_kind:     by_value
      - .actual_access:  read_only
        .address_space:  global
        .offset:         16
        .size:           8
        .value_kind:     global_buffer
      - .actual_access:  read_only
        .address_space:  global
        .offset:         24
        .size:           8
        .value_kind:     global_buffer
      - .offset:         32
        .size:           8
        .value_kind:     by_value
      - .actual_access:  read_only
        .address_space:  global
        .offset:         40
        .size:           8
        .value_kind:     global_buffer
      - .actual_access:  read_only
        .address_space:  global
        .offset:         48
        .size:           8
        .value_kind:     global_buffer
      - .offset:         56
        .size:           4
        .value_kind:     by_value
      - .actual_access:  read_only
        .address_space:  global
        .offset:         64
        .size:           8
        .value_kind:     global_buffer
      - .actual_access:  read_only
        .address_space:  global
        .offset:         72
        .size:           8
        .value_kind:     global_buffer
      - .address_space:  global
        .offset:         80
        .size:           8
        .value_kind:     global_buffer
    .group_segment_fixed_size: 0
    .kernarg_segment_align: 8
    .kernarg_segment_size: 88
    .language:       OpenCL C
    .language_version:
      - 2
      - 0
    .max_flat_workgroup_size: 56
    .name:           fft_rtc_back_len672_factors_2_2_2_2_2_3_7_wgs_56_tpt_56_halfLds_dp_ip_CI_unitstride_sbrr_dirReg
    .private_segment_fixed_size: 0
    .sgpr_count:     31
    .sgpr_spill_count: 0
    .symbol:         fft_rtc_back_len672_factors_2_2_2_2_2_3_7_wgs_56_tpt_56_halfLds_dp_ip_CI_unitstride_sbrr_dirReg.kd
    .uniform_work_group_size: 1
    .uses_dynamic_stack: false
    .vgpr_count:     98
    .vgpr_spill_count: 0
    .wavefront_size: 64
amdhsa.target:   amdgcn-amd-amdhsa--gfx950
amdhsa.version:
  - 1
  - 2
...

	.end_amdgpu_metadata
